;; amdgpu-corpus repo=ROCm/rocFFT kind=compiled arch=gfx1201 opt=O3
	.text
	.amdgcn_target "amdgcn-amd-amdhsa--gfx1201"
	.amdhsa_code_object_version 6
	.protected	fft_rtc_fwd_len242_factors_11_2_11_wgs_110_tpt_22_dp_ip_CI_unitstride_sbrr_R2C_dirReg ; -- Begin function fft_rtc_fwd_len242_factors_11_2_11_wgs_110_tpt_22_dp_ip_CI_unitstride_sbrr_R2C_dirReg
	.globl	fft_rtc_fwd_len242_factors_11_2_11_wgs_110_tpt_22_dp_ip_CI_unitstride_sbrr_R2C_dirReg
	.p2align	8
	.type	fft_rtc_fwd_len242_factors_11_2_11_wgs_110_tpt_22_dp_ip_CI_unitstride_sbrr_R2C_dirReg,@function
fft_rtc_fwd_len242_factors_11_2_11_wgs_110_tpt_22_dp_ip_CI_unitstride_sbrr_R2C_dirReg: ; @fft_rtc_fwd_len242_factors_11_2_11_wgs_110_tpt_22_dp_ip_CI_unitstride_sbrr_R2C_dirReg
; %bb.0:
	s_load_b128 s[4:7], s[0:1], 0x0
	v_mul_u32_u24_e32 v1, 0xba3, v0
	s_clause 0x1
	s_load_b64 s[8:9], s[0:1], 0x50
	s_load_b64 s[10:11], s[0:1], 0x18
	v_mov_b32_e32 v5, 0
	v_lshrrev_b32_e32 v1, 16, v1
	s_delay_alu instid0(VALU_DEP_1) | instskip(SKIP_3) | instid1(VALU_DEP_1)
	v_mad_co_u64_u32 v[1:2], null, ttmp9, 5, v[1:2]
	v_mov_b32_e32 v3, 0
	v_mov_b32_e32 v4, 0
	;; [unrolled: 1-line block ×4, first 2 shown]
	s_wait_kmcnt 0x0
	v_cmp_lt_u64_e64 s2, s[6:7], 2
	v_mov_b32_e32 v9, v1
	s_delay_alu instid0(VALU_DEP_2)
	s_and_b32 vcc_lo, exec_lo, s2
	s_cbranch_vccnz .LBB0_8
; %bb.1:
	s_load_b64 s[2:3], s[0:1], 0x10
	v_dual_mov_b32 v3, 0 :: v_dual_mov_b32 v8, v2
	v_dual_mov_b32 v4, 0 :: v_dual_mov_b32 v7, v1
	s_add_nc_u64 s[12:13], s[10:11], 8
	s_mov_b64 s[14:15], 1
	s_wait_kmcnt 0x0
	s_add_nc_u64 s[16:17], s[2:3], 8
	s_mov_b32 s3, 0
.LBB0_2:                                ; =>This Inner Loop Header: Depth=1
	s_load_b64 s[18:19], s[16:17], 0x0
                                        ; implicit-def: $vgpr9_vgpr10
	s_mov_b32 s2, exec_lo
	s_wait_kmcnt 0x0
	v_or_b32_e32 v6, s19, v8
	s_delay_alu instid0(VALU_DEP_1)
	v_cmpx_ne_u64_e32 0, v[5:6]
	s_wait_alu 0xfffe
	s_xor_b32 s20, exec_lo, s2
	s_cbranch_execz .LBB0_4
; %bb.3:                                ;   in Loop: Header=BB0_2 Depth=1
	s_cvt_f32_u32 s2, s18
	s_cvt_f32_u32 s21, s19
	s_sub_nc_u64 s[24:25], 0, s[18:19]
	s_wait_alu 0xfffe
	s_delay_alu instid0(SALU_CYCLE_1) | instskip(SKIP_1) | instid1(SALU_CYCLE_2)
	s_fmamk_f32 s2, s21, 0x4f800000, s2
	s_wait_alu 0xfffe
	v_s_rcp_f32 s2, s2
	s_delay_alu instid0(TRANS32_DEP_1) | instskip(SKIP_1) | instid1(SALU_CYCLE_2)
	s_mul_f32 s2, s2, 0x5f7ffffc
	s_wait_alu 0xfffe
	s_mul_f32 s21, s2, 0x2f800000
	s_wait_alu 0xfffe
	s_delay_alu instid0(SALU_CYCLE_2) | instskip(SKIP_1) | instid1(SALU_CYCLE_2)
	s_trunc_f32 s21, s21
	s_wait_alu 0xfffe
	s_fmamk_f32 s2, s21, 0xcf800000, s2
	s_cvt_u32_f32 s23, s21
	s_wait_alu 0xfffe
	s_delay_alu instid0(SALU_CYCLE_1) | instskip(SKIP_1) | instid1(SALU_CYCLE_2)
	s_cvt_u32_f32 s22, s2
	s_wait_alu 0xfffe
	s_mul_u64 s[26:27], s[24:25], s[22:23]
	s_wait_alu 0xfffe
	s_mul_hi_u32 s29, s22, s27
	s_mul_i32 s28, s22, s27
	s_mul_hi_u32 s2, s22, s26
	s_mul_i32 s30, s23, s26
	s_wait_alu 0xfffe
	s_add_nc_u64 s[28:29], s[2:3], s[28:29]
	s_mul_hi_u32 s21, s23, s26
	s_mul_hi_u32 s31, s23, s27
	s_add_co_u32 s2, s28, s30
	s_wait_alu 0xfffe
	s_add_co_ci_u32 s2, s29, s21
	s_mul_i32 s26, s23, s27
	s_add_co_ci_u32 s27, s31, 0
	s_wait_alu 0xfffe
	s_add_nc_u64 s[26:27], s[2:3], s[26:27]
	s_wait_alu 0xfffe
	v_add_co_u32 v2, s2, s22, s26
	s_delay_alu instid0(VALU_DEP_1) | instskip(SKIP_1) | instid1(VALU_DEP_1)
	s_cmp_lg_u32 s2, 0
	s_add_co_ci_u32 s23, s23, s27
	v_readfirstlane_b32 s22, v2
	s_wait_alu 0xfffe
	s_delay_alu instid0(VALU_DEP_1)
	s_mul_u64 s[24:25], s[24:25], s[22:23]
	s_wait_alu 0xfffe
	s_mul_hi_u32 s27, s22, s25
	s_mul_i32 s26, s22, s25
	s_mul_hi_u32 s2, s22, s24
	s_mul_i32 s28, s23, s24
	s_wait_alu 0xfffe
	s_add_nc_u64 s[26:27], s[2:3], s[26:27]
	s_mul_hi_u32 s21, s23, s24
	s_mul_hi_u32 s22, s23, s25
	s_wait_alu 0xfffe
	s_add_co_u32 s2, s26, s28
	s_add_co_ci_u32 s2, s27, s21
	s_mul_i32 s24, s23, s25
	s_add_co_ci_u32 s25, s22, 0
	s_wait_alu 0xfffe
	s_add_nc_u64 s[24:25], s[2:3], s[24:25]
	s_wait_alu 0xfffe
	v_add_co_u32 v2, s2, v2, s24
	s_delay_alu instid0(VALU_DEP_1) | instskip(SKIP_1) | instid1(VALU_DEP_1)
	s_cmp_lg_u32 s2, 0
	s_add_co_ci_u32 s2, s23, s25
	v_mul_hi_u32 v6, v7, v2
	s_wait_alu 0xfffe
	v_mad_co_u64_u32 v[9:10], null, v7, s2, 0
	v_mad_co_u64_u32 v[11:12], null, v8, v2, 0
	;; [unrolled: 1-line block ×3, first 2 shown]
	s_delay_alu instid0(VALU_DEP_3) | instskip(SKIP_1) | instid1(VALU_DEP_4)
	v_add_co_u32 v2, vcc_lo, v6, v9
	s_wait_alu 0xfffd
	v_add_co_ci_u32_e32 v6, vcc_lo, 0, v10, vcc_lo
	s_delay_alu instid0(VALU_DEP_2) | instskip(SKIP_1) | instid1(VALU_DEP_2)
	v_add_co_u32 v2, vcc_lo, v2, v11
	s_wait_alu 0xfffd
	v_add_co_ci_u32_e32 v2, vcc_lo, v6, v12, vcc_lo
	s_wait_alu 0xfffd
	v_add_co_ci_u32_e32 v6, vcc_lo, 0, v14, vcc_lo
	s_delay_alu instid0(VALU_DEP_2) | instskip(SKIP_1) | instid1(VALU_DEP_2)
	v_add_co_u32 v2, vcc_lo, v2, v13
	s_wait_alu 0xfffd
	v_add_co_ci_u32_e32 v6, vcc_lo, 0, v6, vcc_lo
	s_delay_alu instid0(VALU_DEP_2) | instskip(SKIP_1) | instid1(VALU_DEP_3)
	v_mul_lo_u32 v11, s19, v2
	v_mad_co_u64_u32 v[9:10], null, s18, v2, 0
	v_mul_lo_u32 v12, s18, v6
	s_delay_alu instid0(VALU_DEP_2) | instskip(NEXT) | instid1(VALU_DEP_2)
	v_sub_co_u32 v9, vcc_lo, v7, v9
	v_add3_u32 v10, v10, v12, v11
	s_delay_alu instid0(VALU_DEP_1) | instskip(SKIP_1) | instid1(VALU_DEP_1)
	v_sub_nc_u32_e32 v11, v8, v10
	s_wait_alu 0xfffd
	v_subrev_co_ci_u32_e64 v11, s2, s19, v11, vcc_lo
	v_add_co_u32 v12, s2, v2, 2
	s_wait_alu 0xf1ff
	v_add_co_ci_u32_e64 v13, s2, 0, v6, s2
	v_sub_co_u32 v14, s2, v9, s18
	v_sub_co_ci_u32_e32 v10, vcc_lo, v8, v10, vcc_lo
	s_wait_alu 0xf1ff
	v_subrev_co_ci_u32_e64 v11, s2, 0, v11, s2
	s_delay_alu instid0(VALU_DEP_3) | instskip(NEXT) | instid1(VALU_DEP_3)
	v_cmp_le_u32_e32 vcc_lo, s18, v14
	v_cmp_eq_u32_e64 s2, s19, v10
	s_wait_alu 0xfffd
	v_cndmask_b32_e64 v14, 0, -1, vcc_lo
	v_cmp_le_u32_e32 vcc_lo, s19, v11
	s_wait_alu 0xfffd
	v_cndmask_b32_e64 v15, 0, -1, vcc_lo
	v_cmp_le_u32_e32 vcc_lo, s18, v9
	;; [unrolled: 3-line block ×3, first 2 shown]
	s_wait_alu 0xfffd
	v_cndmask_b32_e64 v16, 0, -1, vcc_lo
	v_cmp_eq_u32_e32 vcc_lo, s19, v11
	s_wait_alu 0xf1ff
	s_delay_alu instid0(VALU_DEP_2)
	v_cndmask_b32_e64 v9, v16, v9, s2
	s_wait_alu 0xfffd
	v_cndmask_b32_e32 v11, v15, v14, vcc_lo
	v_add_co_u32 v14, vcc_lo, v2, 1
	s_wait_alu 0xfffd
	v_add_co_ci_u32_e32 v15, vcc_lo, 0, v6, vcc_lo
	s_delay_alu instid0(VALU_DEP_3) | instskip(SKIP_1) | instid1(VALU_DEP_2)
	v_cmp_ne_u32_e32 vcc_lo, 0, v11
	s_wait_alu 0xfffd
	v_dual_cndmask_b32 v10, v15, v13 :: v_dual_cndmask_b32 v11, v14, v12
	v_cmp_ne_u32_e32 vcc_lo, 0, v9
	s_wait_alu 0xfffd
	s_delay_alu instid0(VALU_DEP_2) | instskip(NEXT) | instid1(VALU_DEP_3)
	v_cndmask_b32_e32 v10, v6, v10, vcc_lo
	v_cndmask_b32_e32 v9, v2, v11, vcc_lo
.LBB0_4:                                ;   in Loop: Header=BB0_2 Depth=1
	s_wait_alu 0xfffe
	s_and_not1_saveexec_b32 s2, s20
	s_cbranch_execz .LBB0_6
; %bb.5:                                ;   in Loop: Header=BB0_2 Depth=1
	v_cvt_f32_u32_e32 v2, s18
	s_sub_co_i32 s20, 0, s18
	s_delay_alu instid0(VALU_DEP_1) | instskip(NEXT) | instid1(TRANS32_DEP_1)
	v_rcp_iflag_f32_e32 v2, v2
	v_mul_f32_e32 v2, 0x4f7ffffe, v2
	s_delay_alu instid0(VALU_DEP_1) | instskip(SKIP_1) | instid1(VALU_DEP_1)
	v_cvt_u32_f32_e32 v2, v2
	s_wait_alu 0xfffe
	v_mul_lo_u32 v6, s20, v2
	s_delay_alu instid0(VALU_DEP_1) | instskip(NEXT) | instid1(VALU_DEP_1)
	v_mul_hi_u32 v6, v2, v6
	v_add_nc_u32_e32 v2, v2, v6
	s_delay_alu instid0(VALU_DEP_1) | instskip(NEXT) | instid1(VALU_DEP_1)
	v_mul_hi_u32 v2, v7, v2
	v_mul_lo_u32 v6, v2, s18
	v_add_nc_u32_e32 v9, 1, v2
	s_delay_alu instid0(VALU_DEP_2) | instskip(NEXT) | instid1(VALU_DEP_1)
	v_sub_nc_u32_e32 v6, v7, v6
	v_subrev_nc_u32_e32 v10, s18, v6
	v_cmp_le_u32_e32 vcc_lo, s18, v6
	s_wait_alu 0xfffd
	s_delay_alu instid0(VALU_DEP_2) | instskip(SKIP_2) | instid1(VALU_DEP_3)
	v_cndmask_b32_e32 v6, v6, v10, vcc_lo
	v_mov_b32_e32 v10, v5
	v_cndmask_b32_e32 v2, v2, v9, vcc_lo
	v_cmp_le_u32_e32 vcc_lo, s18, v6
	s_delay_alu instid0(VALU_DEP_2) | instskip(SKIP_1) | instid1(VALU_DEP_1)
	v_add_nc_u32_e32 v9, 1, v2
	s_wait_alu 0xfffd
	v_cndmask_b32_e32 v9, v2, v9, vcc_lo
.LBB0_6:                                ;   in Loop: Header=BB0_2 Depth=1
	s_wait_alu 0xfffe
	s_or_b32 exec_lo, exec_lo, s2
	s_load_b64 s[20:21], s[12:13], 0x0
	v_mul_lo_u32 v2, v10, s18
	v_mul_lo_u32 v6, v9, s19
	v_mad_co_u64_u32 v[11:12], null, v9, s18, 0
	s_add_nc_u64 s[14:15], s[14:15], 1
	s_add_nc_u64 s[12:13], s[12:13], 8
	s_wait_alu 0xfffe
	v_cmp_ge_u64_e64 s2, s[14:15], s[6:7]
	s_add_nc_u64 s[16:17], s[16:17], 8
	s_delay_alu instid0(VALU_DEP_2) | instskip(NEXT) | instid1(VALU_DEP_3)
	v_add3_u32 v2, v12, v6, v2
	v_sub_co_u32 v6, vcc_lo, v7, v11
	s_wait_alu 0xfffd
	s_delay_alu instid0(VALU_DEP_2) | instskip(SKIP_3) | instid1(VALU_DEP_2)
	v_sub_co_ci_u32_e32 v2, vcc_lo, v8, v2, vcc_lo
	s_and_b32 vcc_lo, exec_lo, s2
	s_wait_kmcnt 0x0
	v_mul_lo_u32 v7, s21, v6
	v_mul_lo_u32 v2, s20, v2
	v_mad_co_u64_u32 v[3:4], null, s20, v6, v[3:4]
	s_delay_alu instid0(VALU_DEP_1)
	v_add3_u32 v4, v7, v4, v2
	s_wait_alu 0xfffe
	s_cbranch_vccnz .LBB0_8
; %bb.7:                                ;   in Loop: Header=BB0_2 Depth=1
	v_dual_mov_b32 v7, v9 :: v_dual_mov_b32 v8, v10
	s_branch .LBB0_2
.LBB0_8:
	s_lshl_b64 s[2:3], s[6:7], 3
	v_mul_hi_u32 v2, 0xcccccccd, v1
	s_wait_alu 0xfffe
	s_add_nc_u64 s[2:3], s[10:11], s[2:3]
	v_mul_hi_u32 v5, 0xba2e8bb, v0
	s_load_b64 s[2:3], s[2:3], 0x0
	s_load_b64 s[0:1], s[0:1], 0x20
	s_delay_alu instid0(VALU_DEP_2) | instskip(NEXT) | instid1(VALU_DEP_2)
	v_lshrrev_b32_e32 v2, 2, v2
	v_mul_u32_u24_e32 v5, 22, v5
	s_delay_alu instid0(VALU_DEP_2) | instskip(NEXT) | instid1(VALU_DEP_2)
	v_lshl_add_u32 v6, v2, 2, v2
	v_sub_nc_u32_e32 v48, v0, v5
	s_delay_alu instid0(VALU_DEP_2) | instskip(NEXT) | instid1(VALU_DEP_2)
	v_sub_nc_u32_e32 v0, v1, v6
	v_add_nc_u32_e32 v53, 22, v48
	v_add_nc_u32_e32 v57, 44, v48
	;; [unrolled: 1-line block ×3, first 2 shown]
	s_wait_kmcnt 0x0
	v_mul_lo_u32 v5, s2, v10
	v_mul_lo_u32 v7, s3, v9
	v_mad_co_u64_u32 v[2:3], null, s2, v9, v[3:4]
	v_cmp_gt_u64_e32 vcc_lo, s[0:1], v[9:10]
	v_cmp_le_u64_e64 s0, s[0:1], v[9:10]
	v_add_nc_u32_e32 v55, 0x58, v48
	v_add_nc_u32_e32 v52, 0x6e, v48
	v_add3_u32 v3, v7, v3, v5
	s_delay_alu instid0(VALU_DEP_4)
	s_and_saveexec_b32 s1, s0
	s_wait_alu 0xfffe
	s_xor_b32 s0, exec_lo, s1
; %bb.9:
	v_add_nc_u32_e32 v53, 22, v48
	v_add_nc_u32_e32 v57, 44, v48
	v_add_nc_u32_e32 v56, 0x42, v48
	v_add_nc_u32_e32 v55, 0x58, v48
	v_add_nc_u32_e32 v52, 0x6e, v48
; %bb.10:
	s_wait_alu 0xfffe
	s_or_saveexec_b32 s1, s0
	v_mul_u32_u24_e32 v0, 0xf3, v0
	v_lshlrev_b64_e32 v[50:51], 4, v[2:3]
	v_lshlrev_b32_e32 v54, 4, v48
	s_delay_alu instid0(VALU_DEP_3)
	v_lshlrev_b32_e32 v58, 4, v0
	s_wait_alu 0xfffe
	s_xor_b32 exec_lo, exec_lo, s1
	s_cbranch_execz .LBB0_12
; %bb.11:
	v_mov_b32_e32 v49, 0
	v_add_co_u32 v2, s0, s8, v50
	s_wait_alu 0xf1ff
	v_add_co_ci_u32_e64 v3, s0, s9, v51, s0
	s_delay_alu instid0(VALU_DEP_3) | instskip(SKIP_1) | instid1(VALU_DEP_2)
	v_lshlrev_b64_e32 v[0:1], 4, v[48:49]
	v_add3_u32 v44, 0, v58, v54
	v_add_co_u32 v40, s0, v2, v0
	s_wait_alu 0xf1ff
	s_delay_alu instid0(VALU_DEP_3)
	v_add_co_ci_u32_e64 v41, s0, v3, v1, s0
	s_clause 0xa
	global_load_b128 v[0:3], v[40:41], off
	global_load_b128 v[4:7], v[40:41], off offset:352
	global_load_b128 v[8:11], v[40:41], off offset:704
	;; [unrolled: 1-line block ×10, first 2 shown]
	s_wait_loadcnt 0xa
	ds_store_b128 v44, v[0:3]
	s_wait_loadcnt 0x9
	ds_store_b128 v44, v[4:7] offset:352
	s_wait_loadcnt 0x8
	ds_store_b128 v44, v[8:11] offset:704
	;; [unrolled: 2-line block ×10, first 2 shown]
.LBB0_12:
	s_or_b32 exec_lo, exec_lo, s1
	v_add_nc_u32_e32 v60, 0, v58
	v_add3_u32 v49, 0, v54, v58
	global_wb scope:SCOPE_SE
	s_wait_dscnt 0x0
	s_barrier_signal -1
	s_barrier_wait -1
	v_add_nc_u32_e32 v59, v60, v54
	global_inv scope:SCOPE_SE
	s_mov_b32 s22, 0xf8bb580b
	s_mov_b32 s23, 0xbfe14ced
	;; [unrolled: 1-line block ×3, first 2 shown]
	ds_load_b128 v[0:3], v59
	ds_load_b128 v[4:7], v49 offset:352
	ds_load_b128 v[16:19], v49 offset:704
	;; [unrolled: 1-line block ×9, first 2 shown]
	s_mov_b32 s14, 0x8eee2c13
	s_mov_b32 s16, 0x43842ef
	;; [unrolled: 1-line block ×15, first 2 shown]
	s_wait_alu 0xfffe
	s_mov_b32 s26, s18
	s_mov_b32 s28, s16
	s_wait_dscnt 0x8
	v_add_f64_e32 v[10:11], v[2:3], v[6:7]
	v_add_f64_e32 v[8:9], v[0:1], v[4:5]
	s_wait_dscnt 0x5
	v_add_f64_e64 v[61:62], v[18:19], -v[14:15]
	v_add_f64_e64 v[63:64], v[16:17], -v[12:13]
	s_wait_dscnt 0x2
	v_add_f64_e64 v[69:70], v[34:35], -v[30:31]
	v_add_f64_e32 v[83:84], v[34:35], v[30:31]
	v_add_f64_e64 v[71:72], v[32:33], -v[28:29]
	v_add_f64_e32 v[79:80], v[32:33], v[28:29]
	s_mov_b32 s24, s22
	s_mov_b32 s7, 0xbfc2375f
	;; [unrolled: 1-line block ×3, first 2 shown]
	v_add_f64_e64 v[65:66], v[22:23], -v[26:27]
	v_add_f64_e64 v[67:68], v[20:21], -v[24:25]
	s_mov_b32 s13, 0xbfe4f49e
	s_mov_b32 s10, 0x9bcd5057
	s_mov_b32 s11, 0xbfeeb42a
	s_wait_dscnt 0x0
	v_add_f64_e64 v[73:74], v[42:43], -v[38:39]
	v_add_f64_e64 v[75:76], v[40:41], -v[36:37]
	v_add_f64_e32 v[85:86], v[40:41], v[36:37]
	v_add_f64_e32 v[87:88], v[42:43], v[38:39]
	v_add_f64_e32 v[46:47], v[10:11], v[18:19]
	v_add_f64_e32 v[44:45], v[8:9], v[16:17]
	ds_load_b128 v[8:11], v49 offset:3520
	v_add_f64_e32 v[16:17], v[16:17], v[12:13]
	v_add_f64_e32 v[18:19], v[18:19], v[14:15]
	v_mul_f64_e32 v[89:90], s[14:15], v[61:62]
	v_mul_f64_e32 v[91:92], s[14:15], v[63:64]
	;; [unrolled: 1-line block ×4, first 2 shown]
	s_wait_alu 0xfffe
	v_mul_f64_e32 v[117:118], s[26:27], v[61:62]
	v_mul_f64_e32 v[119:120], s[26:27], v[63:64]
	;; [unrolled: 1-line block ×13, first 2 shown]
	s_wait_dscnt 0x0
	v_add_f64_e64 v[77:78], v[6:7], -v[10:11]
	v_add_f64_e64 v[81:82], v[4:5], -v[8:9]
	v_add_f64_e32 v[4:5], v[4:5], v[8:9]
	v_add_f64_e32 v[6:7], v[6:7], v[10:11]
	v_mul_f64_e32 v[95:96], s[16:17], v[67:68]
	v_mul_f64_e32 v[135:136], s[22:23], v[65:66]
	;; [unrolled: 1-line block ×12, first 2 shown]
	v_add_f64_e32 v[46:47], v[46:47], v[22:23]
	v_add_f64_e32 v[44:45], v[44:45], v[20:21]
	;; [unrolled: 1-line block ×4, first 2 shown]
	v_mul_f64_e32 v[103:104], s[18:19], v[75:76]
	v_mul_f64_e32 v[161:162], s[16:17], v[73:74]
	;; [unrolled: 1-line block ×3, first 2 shown]
	v_fma_f64 v[173:174], v[16:17], s[12:13], -v[105:106]
	v_fma_f64 v[175:176], v[18:19], s[12:13], v[107:108]
	v_fma_f64 v[185:186], v[16:17], s[10:11], -v[117:118]
	v_fma_f64 v[189:190], v[18:19], s[10:11], v[119:120]
	;; [unrolled: 2-line block ×3, first 2 shown]
	v_fma_f64 v[131:132], v[18:19], s[6:7], -v[131:132]
	global_wb scope:SCOPE_SE
	v_fma_f64 v[171:172], v[83:84], s[12:13], -v[99:100]
	v_fma_f64 v[99:100], v[83:84], s[12:13], v[99:100]
	s_barrier_signal -1
	s_barrier_wait -1
	global_inv scope:SCOPE_SE
	v_mul_f64_e32 v[133:134], s[22:23], v[77:78]
	v_mul_f64_e32 v[137:138], s[22:23], v[81:82]
	;; [unrolled: 1-line block ×10, first 2 shown]
	s_mov_b32 s15, 0x3fed1bb4
	v_fma_f64 v[169:170], v[79:80], s[12:13], v[97:98]
	s_wait_alu 0xfffe
	v_mul_f64_e32 v[65:66], s[14:15], v[65:66]
	v_mul_f64_e32 v[67:68], s[14:15], v[67:68]
	;; [unrolled: 1-line block ×3, first 2 shown]
	v_fma_f64 v[97:98], v[79:80], s[12:13], -v[97:98]
	v_add_f64_e32 v[34:35], v[46:47], v[34:35]
	v_add_f64_e32 v[32:33], v[44:45], v[32:33]
	v_fma_f64 v[177:178], v[20:21], s[10:11], -v[109:110]
	v_fma_f64 v[181:182], v[22:23], s[10:11], v[111:112]
	v_fma_f64 v[165:166], v[20:21], s[6:7], v[93:94]
	v_fma_f64 v[93:94], v[20:21], s[6:7], -v[93:94]
	v_fma_f64 v[109:110], v[20:21], s[10:11], v[109:110]
	v_fma_f64 v[167:168], v[22:23], s[6:7], -v[95:96]
	;; [unrolled: 2-line block ×3, first 2 shown]
	v_mul_f64_e32 v[44:45], s[24:25], v[73:74]
	v_mul_f64_e32 v[46:47], s[24:25], v[75:76]
	;; [unrolled: 1-line block ×4, first 2 shown]
	v_fma_f64 v[179:180], v[4:5], s[2:3], v[133:134]
	v_fma_f64 v[183:184], v[6:7], s[2:3], -v[137:138]
	v_fma_f64 v[187:188], v[4:5], s[0:1], -v[141:142]
	v_fma_f64 v[191:192], v[6:7], s[0:1], v[145:146]
	v_fma_f64 v[195:196], v[4:5], s[6:7], -v[149:150]
	v_fma_f64 v[197:198], v[6:7], s[6:7], v[151:152]
	;; [unrolled: 2-line block ×4, first 2 shown]
	v_fma_f64 v[149:150], v[4:5], s[6:7], v[149:150]
	v_fma_f64 v[153:154], v[4:5], s[12:13], v[153:154]
	v_fma_f64 v[203:204], v[4:5], s[10:11], -v[77:78]
	v_fma_f64 v[4:5], v[4:5], s[10:11], v[77:78]
	v_fma_f64 v[77:78], v[6:7], s[10:11], v[81:82]
	v_fma_f64 v[81:82], v[6:7], s[10:11], -v[81:82]
	v_add_f64_e32 v[34:35], v[34:35], v[42:43]
	v_fma_f64 v[155:156], v[6:7], s[12:13], -v[155:156]
	v_fma_f64 v[151:152], v[6:7], s[6:7], -v[151:152]
	;; [unrolled: 1-line block ×3, first 2 shown]
	v_add_f64_e32 v[32:33], v[32:33], v[40:41]
	v_fma_f64 v[6:7], v[6:7], s[2:3], v[137:138]
	v_mul_f64_e32 v[40:41], s[14:15], v[71:72]
	v_fma_f64 v[42:43], v[16:17], s[0:1], v[89:90]
	v_fma_f64 v[71:72], v[18:19], s[0:1], -v[91:92]
	v_fma_f64 v[137:138], v[20:21], s[2:3], -v[135:136]
	v_fma_f64 v[135:136], v[20:21], s[2:3], v[135:136]
	v_add_f64_e32 v[187:188], v[0:1], v[187:188]
	v_add_f64_e32 v[133:134], v[0:1], v[133:134]
	;; [unrolled: 1-line block ×7, first 2 shown]
	v_fma_f64 v[38:39], v[16:17], s[0:1], -v[89:90]
	v_fma_f64 v[89:90], v[16:17], s[12:13], v[105:106]
	v_fma_f64 v[105:106], v[16:17], s[10:11], v[117:118]
	;; [unrolled: 1-line block ×3, first 2 shown]
	v_fma_f64 v[129:130], v[16:17], s[2:3], -v[61:62]
	v_fma_f64 v[16:17], v[16:17], s[2:3], v[61:62]
	v_fma_f64 v[61:62], v[18:19], s[0:1], v[91:92]
	v_fma_f64 v[91:92], v[18:19], s[12:13], -v[107:108]
	v_fma_f64 v[107:108], v[18:19], s[10:11], -v[119:120]
	v_add_f64_e32 v[119:120], v[0:1], v[179:180]
	v_add_f64_e32 v[179:180], v[2:3], v[183:184]
	v_fma_f64 v[183:184], v[18:19], s[2:3], v[63:64]
	v_fma_f64 v[18:19], v[18:19], s[2:3], -v[63:64]
	v_add_f64_e32 v[63:64], v[2:3], v[191:192]
	v_add_f64_e32 v[191:192], v[0:1], v[195:196]
	;; [unrolled: 1-line block ×14, first 2 shown]
	v_fma_f64 v[155:156], v[20:21], s[12:13], -v[157:158]
	v_fma_f64 v[6:7], v[20:21], s[12:13], v[157:158]
	v_fma_f64 v[203:204], v[20:21], s[0:1], -v[65:66]
	v_fma_f64 v[20:21], v[20:21], s[0:1], v[65:66]
	v_fma_f64 v[65:66], v[22:23], s[0:1], v[67:68]
	;; [unrolled: 1-line block ×4, first 2 shown]
	v_fma_f64 v[159:160], v[22:23], s[12:13], -v[159:160]
	v_fma_f64 v[139:140], v[22:23], s[2:3], -v[139:140]
	;; [unrolled: 1-line block ×3, first 2 shown]
	v_add_f64_e32 v[30:31], v[34:35], v[30:31]
	v_add_f64_e32 v[38:39], v[38:39], v[133:134]
	;; [unrolled: 1-line block ×5, first 2 shown]
	v_fma_f64 v[187:188], v[83:84], s[6:7], v[115:116]
	v_fma_f64 v[34:35], v[83:84], s[2:3], v[123:124]
	v_fma_f64 v[115:116], v[83:84], s[6:7], -v[115:116]
	v_fma_f64 v[123:124], v[83:84], s[2:3], -v[123:124]
	;; [unrolled: 1-line block ×3, first 2 shown]
	v_add_f64_e32 v[42:43], v[42:43], v[119:120]
	v_add_f64_e32 v[71:72], v[71:72], v[179:180]
	;; [unrolled: 1-line block ×3, first 2 shown]
	v_fma_f64 v[179:180], v[79:80], s[6:7], -v[113:114]
	v_add_f64_e32 v[63:64], v[175:176], v[63:64]
	v_add_f64_e32 v[185:186], v[185:186], v[191:192]
	;; [unrolled: 1-line block ×13, first 2 shown]
	v_fma_f64 v[32:33], v[79:80], s[2:3], -v[121:122]
	v_fma_f64 v[61:62], v[79:80], s[10:11], -v[143:144]
	v_fma_f64 v[91:92], v[83:84], s[10:11], v[147:148]
	v_fma_f64 v[107:108], v[79:80], s[6:7], v[113:114]
	;; [unrolled: 1-line block ×4, first 2 shown]
	v_fma_f64 v[131:132], v[83:84], s[10:11], -v[147:148]
	v_fma_f64 v[69:70], v[79:80], s[0:1], v[69:70]
	v_fma_f64 v[79:80], v[83:84], s[0:1], v[40:41]
	v_fma_f64 v[40:41], v[83:84], s[0:1], -v[40:41]
	v_add_f64_e32 v[83:84], v[177:178], v[173:174]
	v_fma_f64 v[175:176], v[85:86], s[2:3], -v[44:45]
	v_add_f64_e32 v[38:39], v[93:94], v[38:39]
	v_add_f64_e32 v[89:90], v[109:110], v[89:90]
	;; [unrolled: 1-line block ×4, first 2 shown]
	v_fma_f64 v[191:192], v[87:88], s[2:3], v[46:47]
	v_fma_f64 v[117:118], v[87:88], s[12:13], -v[127:128]
	v_fma_f64 v[109:110], v[87:88], s[6:7], v[163:164]
	v_fma_f64 v[67:68], v[85:86], s[10:11], v[101:102]
	v_fma_f64 v[119:120], v[87:88], s[10:11], -v[103:104]
	v_add_f64_e32 v[42:43], v[165:166], v[42:43]
	v_add_f64_e32 v[71:72], v[167:168], v[71:72]
	v_add_f64_e32 v[77:78], v[157:158], v[77:78]
	v_fma_f64 v[46:47], v[87:88], s[2:3], -v[46:47]
	v_add_f64_e32 v[63:64], v[181:182], v[63:64]
	v_add_f64_e32 v[141:142], v[203:204], v[185:186]
	;; [unrolled: 1-line block ×14, first 2 shown]
	v_fma_f64 v[26:27], v[85:86], s[12:13], -v[125:126]
	v_fma_f64 v[28:29], v[87:88], s[12:13], v[127:128]
	v_fma_f64 v[81:82], v[85:86], s[12:13], v[125:126]
	v_fma_f64 v[125:126], v[85:86], s[0:1], -v[73:74]
	v_fma_f64 v[127:128], v[87:88], s[0:1], v[75:76]
	v_fma_f64 v[30:31], v[85:86], s[10:11], -v[101:102]
	v_fma_f64 v[95:96], v[85:86], s[6:7], -v[161:162]
	v_fma_f64 v[101:102], v[85:86], s[6:7], v[161:162]
	v_fma_f64 v[111:112], v[87:88], s[6:7], -v[163:164]
	v_add_f64_e32 v[83:84], v[179:180], v[83:84]
	v_fma_f64 v[103:104], v[87:88], s[10:11], v[103:104]
	v_add_f64_e32 v[38:39], v[97:98], v[38:39]
	v_fma_f64 v[73:74], v[85:86], s[0:1], v[73:74]
	v_fma_f64 v[75:76], v[87:88], s[0:1], -v[75:76]
	v_add_f64_e32 v[87:88], v[121:122], v[93:94]
	v_fma_f64 v[44:45], v[85:86], s[2:3], v[44:45]
	v_add_f64_e32 v[85:86], v[113:114], v[20:21]
	v_cmp_gt_u32_e64 s0, 11, v48
	v_add_f64_e32 v[42:43], v[169:170], v[42:43]
	v_add_f64_e32 v[71:72], v[171:172], v[71:72]
	;; [unrolled: 1-line block ×40, first 2 shown]
	v_mad_u32_u24 v44, 0xa0, v48, v49
	v_lshl_add_u32 v64, v53, 4, v60
	v_lshl_add_u32 v63, v57, 4, v60
	;; [unrolled: 1-line block ×4, first 2 shown]
	v_lshlrev_b32_e32 v65, 4, v52
	ds_store_b128 v44, v[4:7] offset:32
	ds_store_b128 v44, v[12:15] offset:48
	;; [unrolled: 1-line block ×9, first 2 shown]
	ds_store_b128 v44, v[8:11]
	ds_store_b128 v44, v[20:23] offset:16
	global_wb scope:SCOPE_SE
	s_wait_dscnt 0x0
	s_barrier_signal -1
	s_barrier_wait -1
	global_inv scope:SCOPE_SE
	ds_load_b128 v[16:19], v59
	ds_load_b128 v[28:31], v49 offset:1936
	ds_load_b128 v[20:23], v64
	ds_load_b128 v[12:15], v63
	ds_load_b128 v[40:43], v49 offset:2288
	ds_load_b128 v[32:35], v49 offset:2640
	ds_load_b128 v[24:27], v62
	ds_load_b128 v[8:11], v61
	ds_load_b128 v[44:47], v49 offset:2992
	ds_load_b128 v[36:39], v49 offset:3344
                                        ; implicit-def: $vgpr6_vgpr7
	s_and_saveexec_b32 s1, s0
	s_cbranch_execz .LBB0_14
; %bb.13:
	v_add3_u32 v0, 0, v65, v58
	ds_load_b128 v[0:3], v0
	ds_load_b128 v[4:7], v49 offset:3696
.LBB0_14:
	s_wait_alu 0xfffe
	s_or_b32 exec_lo, exec_lo, s1
	v_dual_mov_b32 v87, 0 :: v_dual_and_b32 v66, 0xff, v53
	v_and_b32_e32 v67, 0xff, v57
	v_and_b32_e32 v68, 0xff, v56
	;; [unrolled: 1-line block ×3, first 2 shown]
	s_delay_alu instid0(VALU_DEP_4) | instskip(NEXT) | instid1(VALU_DEP_4)
	v_mul_lo_u16 v66, 0x75, v66
	v_mul_lo_u16 v67, 0x75, v67
	s_delay_alu instid0(VALU_DEP_4) | instskip(NEXT) | instid1(VALU_DEP_4)
	v_mul_lo_u16 v68, 0x75, v68
	v_mul_lo_u16 v69, 0x75, v69
	s_delay_alu instid0(VALU_DEP_4) | instskip(NEXT) | instid1(VALU_DEP_4)
	v_lshrrev_b16 v66, 8, v66
	v_lshrrev_b16 v67, 8, v67
	s_delay_alu instid0(VALU_DEP_4) | instskip(NEXT) | instid1(VALU_DEP_4)
	v_lshrrev_b16 v68, 8, v68
	v_lshrrev_b16 v69, 8, v69
	s_delay_alu instid0(VALU_DEP_4) | instskip(NEXT) | instid1(VALU_DEP_4)
	v_sub_nc_u16 v70, v53, v66
	v_sub_nc_u16 v71, v57, v67
	s_delay_alu instid0(VALU_DEP_4) | instskip(NEXT) | instid1(VALU_DEP_4)
	v_sub_nc_u16 v72, v56, v68
	v_sub_nc_u16 v73, v55, v69
	s_delay_alu instid0(VALU_DEP_4) | instskip(NEXT) | instid1(VALU_DEP_4)
	v_lshrrev_b16 v70, 1, v70
	v_lshrrev_b16 v71, 1, v71
	s_delay_alu instid0(VALU_DEP_4) | instskip(NEXT) | instid1(VALU_DEP_4)
	v_lshrrev_b16 v72, 1, v72
	v_lshrrev_b16 v73, 1, v73
	s_delay_alu instid0(VALU_DEP_4) | instskip(NEXT) | instid1(VALU_DEP_4)
	v_and_b32_e32 v70, 0x7f, v70
	v_and_b32_e32 v71, 0x7f, v71
	s_delay_alu instid0(VALU_DEP_4) | instskip(NEXT) | instid1(VALU_DEP_4)
	v_and_b32_e32 v72, 0x7f, v72
	v_and_b32_e32 v73, 0x7f, v73
	s_delay_alu instid0(VALU_DEP_4)
	v_add_nc_u16 v66, v70, v66
	v_add_nc_u32_e32 v70, -11, v48
	v_add_nc_u16 v67, v71, v67
	v_add_nc_u16 v68, v72, v68
	;; [unrolled: 1-line block ×3, first 2 shown]
	v_lshrrev_b16 v97, 3, v66
	v_cndmask_b32_e64 v86, v70, v48, s0
	v_lshrrev_b16 v98, 3, v67
	v_lshrrev_b16 v99, 3, v68
	;; [unrolled: 1-line block ×3, first 2 shown]
	v_mul_lo_u16 v66, v97, 11
	s_delay_alu instid0(VALU_DEP_4) | instskip(NEXT) | instid1(VALU_DEP_4)
	v_mul_lo_u16 v67, v98, 11
	v_mul_lo_u16 v68, v99, 11
	s_delay_alu instid0(VALU_DEP_4) | instskip(NEXT) | instid1(VALU_DEP_4)
	v_mul_lo_u16 v69, v100, 11
	v_sub_nc_u16 v70, v53, v66
	s_delay_alu instid0(VALU_DEP_4) | instskip(SKIP_2) | instid1(VALU_DEP_4)
	v_sub_nc_u16 v71, v57, v67
	v_lshlrev_b64_e32 v[66:67], 4, v[86:87]
	v_sub_nc_u16 v68, v56, v68
	v_and_b32_e32 v70, 0xff, v70
	v_sub_nc_u16 v69, v55, v69
	v_and_b32_e32 v71, 0xff, v71
	v_add_co_u32 v66, s1, s4, v66
	s_wait_alu 0xf1ff
	v_add_co_ci_u32_e64 v67, s1, s5, v67, s1
	v_and_b32_e32 v72, 0xff, v68
	v_lshlrev_b32_e32 v101, 4, v70
	v_and_b32_e32 v74, 0xff, v69
	global_load_b128 v[66:69], v[66:67], off
	v_lshlrev_b32_e32 v102, 4, v71
	v_lshlrev_b32_e32 v103, 4, v72
	global_load_b128 v[70:73], v101, s[4:5]
	v_lshlrev_b32_e32 v104, 4, v74
	s_clause 0x2
	global_load_b128 v[74:77], v102, s[4:5]
	global_load_b128 v[78:81], v103, s[4:5]
	;; [unrolled: 1-line block ×3, first 2 shown]
	v_cmp_lt_u32_e64 s1, 10, v48
	global_wb scope:SCOPE_SE
	s_wait_loadcnt_dscnt 0x0
	s_barrier_signal -1
	s_barrier_wait -1
	global_inv scope:SCOPE_SE
	v_mul_f64_e32 v[87:88], v[30:31], v[68:69]
	v_mul_f64_e32 v[68:69], v[28:29], v[68:69]
	v_mul_f64_e32 v[89:90], v[42:43], v[72:73]
	v_mul_f64_e32 v[72:73], v[40:41], v[72:73]
	v_mul_f64_e32 v[91:92], v[34:35], v[76:77]
	v_mul_f64_e32 v[76:77], v[32:33], v[76:77]
	v_mul_f64_e32 v[93:94], v[46:47], v[80:81]
	v_mul_f64_e32 v[80:81], v[44:45], v[80:81]
	v_mul_f64_e32 v[95:96], v[38:39], v[84:85]
	v_mul_f64_e32 v[84:85], v[36:37], v[84:85]
	v_fma_f64 v[28:29], v[28:29], v[66:67], -v[87:88]
	v_fma_f64 v[30:31], v[30:31], v[66:67], v[68:69]
	v_fma_f64 v[40:41], v[40:41], v[70:71], -v[89:90]
	v_fma_f64 v[42:43], v[42:43], v[70:71], v[72:73]
	;; [unrolled: 2-line block ×5, first 2 shown]
	v_add_f64_e64 v[28:29], v[16:17], -v[28:29]
	v_add_f64_e64 v[30:31], v[18:19], -v[30:31]
	;; [unrolled: 1-line block ×10, first 2 shown]
	s_wait_alu 0xf1ff
	v_cndmask_b32_e64 v66, 0, 0x160, s1
	v_lshlrev_b32_e32 v67, 4, v86
	v_and_b32_e32 v68, 0xffff, v97
	v_and_b32_e32 v69, 0xffff, v98
	;; [unrolled: 1-line block ×3, first 2 shown]
	v_add_nc_u32_e32 v66, 0, v66
	v_and_b32_e32 v71, 0xffff, v100
	s_delay_alu instid0(VALU_DEP_2) | instskip(SKIP_4) | instid1(VALU_DEP_4)
	v_add3_u32 v66, v66, v67, v58
	v_mad_u32_u24 v67, 0x160, v68, 0
	v_mad_u32_u24 v68, 0x160, v69, 0
	;; [unrolled: 1-line block ×4, first 2 shown]
	v_add3_u32 v67, v67, v101, v58
	s_delay_alu instid0(VALU_DEP_4) | instskip(NEXT) | instid1(VALU_DEP_4)
	v_add3_u32 v68, v68, v102, v58
	v_add3_u32 v69, v69, v103, v58
	s_delay_alu instid0(VALU_DEP_4)
	v_add3_u32 v70, v70, v104, v58
	v_fma_f64 v[16:17], v[16:17], 2.0, -v[28:29]
	v_fma_f64 v[18:19], v[18:19], 2.0, -v[30:31]
	v_fma_f64 v[20:21], v[20:21], 2.0, -v[32:33]
	v_fma_f64 v[22:23], v[22:23], 2.0, -v[34:35]
	v_fma_f64 v[12:13], v[12:13], 2.0, -v[36:37]
	v_fma_f64 v[14:15], v[14:15], 2.0, -v[38:39]
	v_fma_f64 v[24:25], v[24:25], 2.0, -v[40:41]
	v_fma_f64 v[26:27], v[26:27], 2.0, -v[42:43]
	v_fma_f64 v[8:9], v[8:9], 2.0, -v[44:45]
	v_fma_f64 v[10:11], v[10:11], 2.0, -v[46:47]
	ds_store_b128 v66, v[16:19]
	ds_store_b128 v66, v[28:31] offset:176
	ds_store_b128 v67, v[20:23]
	ds_store_b128 v67, v[32:35] offset:176
	;; [unrolled: 2-line block ×5, first 2 shown]
	s_and_saveexec_b32 s1, s0
	s_cbranch_execz .LBB0_16
; %bb.15:
	v_and_b32_e32 v8, 0xff, v52
	s_delay_alu instid0(VALU_DEP_1) | instskip(NEXT) | instid1(VALU_DEP_1)
	v_mul_lo_u16 v8, 0x75, v8
	v_lshrrev_b16 v8, 8, v8
	s_delay_alu instid0(VALU_DEP_1) | instskip(NEXT) | instid1(VALU_DEP_1)
	v_sub_nc_u16 v9, v52, v8
	v_lshrrev_b16 v9, 1, v9
	s_delay_alu instid0(VALU_DEP_1) | instskip(NEXT) | instid1(VALU_DEP_1)
	v_and_b32_e32 v9, 0x7f, v9
	v_add_nc_u16 v8, v9, v8
	s_delay_alu instid0(VALU_DEP_1) | instskip(NEXT) | instid1(VALU_DEP_1)
	v_lshrrev_b16 v8, 3, v8
	v_mul_lo_u16 v8, v8, 11
	s_delay_alu instid0(VALU_DEP_1) | instskip(NEXT) | instid1(VALU_DEP_1)
	v_sub_nc_u16 v8, v52, v8
	v_and_b32_e32 v8, 0xff, v8
	s_delay_alu instid0(VALU_DEP_1) | instskip(SKIP_4) | instid1(VALU_DEP_2)
	v_lshlrev_b32_e32 v14, 4, v8
	global_load_b128 v[8:11], v14, s[4:5]
	s_wait_loadcnt 0x0
	v_mul_f64_e32 v[12:13], v[4:5], v[10:11]
	v_mul_f64_e32 v[10:11], v[6:7], v[10:11]
	v_fma_f64 v[6:7], v[6:7], v[8:9], v[12:13]
	s_delay_alu instid0(VALU_DEP_2) | instskip(SKIP_1) | instid1(VALU_DEP_3)
	v_fma_f64 v[4:5], v[4:5], v[8:9], -v[10:11]
	v_add3_u32 v8, 0, v14, v58
	v_add_f64_e64 v[6:7], v[2:3], -v[6:7]
	s_delay_alu instid0(VALU_DEP_3) | instskip(NEXT) | instid1(VALU_DEP_2)
	v_add_f64_e64 v[4:5], v[0:1], -v[4:5]
	v_fma_f64 v[2:3], v[2:3], 2.0, -v[6:7]
	s_delay_alu instid0(VALU_DEP_2)
	v_fma_f64 v[0:1], v[0:1], 2.0, -v[4:5]
	ds_store_b128 v8, v[0:3] offset:3520
	ds_store_b128 v8, v[4:7] offset:3696
.LBB0_16:
	s_wait_alu 0xfffe
	s_or_b32 exec_lo, exec_lo, s1
	v_mul_u32_u24_e32 v0, 10, v48
	global_wb scope:SCOPE_SE
	s_wait_dscnt 0x0
	s_barrier_signal -1
	s_barrier_wait -1
	global_inv scope:SCOPE_SE
	v_lshlrev_b32_e32 v4, 4, v0
	v_add3_u32 v58, 0, v65, v58
	s_mov_b32 s20, 0xf8bb580b
	s_mov_b32 s21, 0xbfe14ced
	;; [unrolled: 1-line block ×3, first 2 shown]
	s_clause 0x9
	global_load_b128 v[0:3], v4, s[4:5] offset:176
	global_load_b128 v[6:9], v4, s[4:5] offset:320
	;; [unrolled: 1-line block ×10, first 2 shown]
	ds_load_b128 v[44:47], v64
	ds_load_b128 v[66:69], v63
	ds_load_b128 v[70:73], v49 offset:3520
	ds_load_b128 v[74:77], v49 offset:3168
	;; [unrolled: 1-line block ×3, first 2 shown]
	ds_load_b128 v[82:85], v62
	ds_load_b128 v[86:89], v61
	ds_load_b128 v[90:93], v49 offset:2464
	ds_load_b128 v[94:97], v58
	ds_load_b128 v[98:101], v49 offset:2112
	s_mov_b32 s18, 0x43842ef
	s_mov_b32 s19, 0xbfefac9e
	;; [unrolled: 1-line block ×10, first 2 shown]
	s_wait_alu 0xfffe
	s_mov_b32 s26, s20
	s_mov_b32 s11, 0xbfc2375f
	;; [unrolled: 1-line block ×7, first 2 shown]
	s_wait_loadcnt_dscnt 0x909
	v_mul_f64_e32 v[4:5], v[46:47], v[2:3]
	v_mul_f64_e32 v[2:3], v[44:45], v[2:3]
	s_wait_loadcnt_dscnt 0x807
	v_mul_f64_e32 v[38:39], v[70:71], v[8:9]
	v_mul_f64_e32 v[8:9], v[72:73], v[8:9]
	s_wait_loadcnt 0x7
	v_mul_f64_e32 v[102:103], v[68:69], v[12:13]
	v_mul_f64_e32 v[12:13], v[66:67], v[12:13]
	s_wait_loadcnt_dscnt 0x606
	v_mul_f64_e32 v[104:105], v[74:75], v[16:17]
	v_mul_f64_e32 v[16:17], v[76:77], v[16:17]
	s_wait_loadcnt_dscnt 0x303
	v_mul_f64_e32 v[110:111], v[88:89], v[28:29]
	v_mul_f64_e32 v[28:29], v[86:87], v[28:29]
	s_wait_loadcnt_dscnt 0x201
	v_mul_f64_e32 v[112:113], v[96:97], v[32:33]
	s_wait_loadcnt 0x1
	v_mul_f64_e32 v[114:115], v[90:91], v[36:37]
	v_mul_f64_e32 v[116:117], v[92:93], v[36:37]
	;; [unrolled: 1-line block ×3, first 2 shown]
	v_fma_f64 v[106:107], v[44:45], v[0:1], -v[4:5]
	v_fma_f64 v[108:109], v[46:47], v[0:1], v[2:3]
	ds_load_b128 v[0:3], v59
	v_mul_f64_e32 v[44:45], v[84:85], v[20:21]
	v_mul_f64_e32 v[20:21], v[82:83], v[20:21]
	v_fma_f64 v[4:5], v[72:73], v[6:7], v[38:39]
	v_fma_f64 v[6:7], v[70:71], v[6:7], -v[8:9]
	v_fma_f64 v[65:66], v[66:67], v[10:11], -v[102:103]
	v_fma_f64 v[67:68], v[68:69], v[10:11], v[12:13]
	v_mul_f64_e32 v[46:47], v[78:79], v[24:25]
	v_mul_f64_e32 v[24:25], v[80:81], v[24:25]
	s_wait_loadcnt_dscnt 0x1
	v_mul_f64_e32 v[118:119], v[98:99], v[42:43]
	v_mul_f64_e32 v[42:43], v[100:101], v[42:43]
	v_fma_f64 v[8:9], v[76:77], v[14:15], v[104:105]
	v_fma_f64 v[10:11], v[74:75], v[14:15], -v[16:17]
	v_fma_f64 v[38:39], v[88:89], v[26:27], v[28:29]
	v_fma_f64 v[28:29], v[94:95], v[30:31], -v[112:113]
	v_fma_f64 v[36:37], v[86:87], v[26:27], -v[110:111]
	v_fma_f64 v[16:17], v[92:93], v[34:35], v[114:115]
	v_fma_f64 v[30:31], v[96:97], v[30:31], v[32:33]
	global_wb scope:SCOPE_SE
	s_wait_dscnt 0x0
	s_barrier_signal -1
	s_barrier_wait -1
	global_inv scope:SCOPE_SE
	v_add_f64_e32 v[69:70], v[0:1], v[106:107]
	v_add_f64_e32 v[71:72], v[2:3], v[108:109]
	v_fma_f64 v[73:74], v[82:83], v[18:19], -v[44:45]
	v_fma_f64 v[75:76], v[84:85], v[18:19], v[20:21]
	v_fma_f64 v[18:19], v[90:91], v[34:35], -v[116:117]
	v_fma_f64 v[12:13], v[80:81], v[22:23], v[46:47]
	v_fma_f64 v[14:15], v[78:79], v[22:23], -v[24:25]
	v_add_f64_e64 v[77:78], v[108:109], -v[4:5]
	v_fma_f64 v[22:23], v[98:99], v[40:41], -v[42:43]
	v_add_f64_e64 v[79:80], v[106:107], -v[6:7]
	v_add_f64_e64 v[81:82], v[67:68], -v[8:9]
	;; [unrolled: 1-line block ×3, first 2 shown]
	v_fma_f64 v[20:21], v[100:101], v[40:41], v[118:119]
	v_add_f64_e32 v[40:41], v[106:107], v[6:7]
	v_add_f64_e32 v[42:43], v[108:109], v[4:5]
	;; [unrolled: 1-line block ×7, first 2 shown]
	v_add_f64_e64 v[65:66], v[38:39], -v[16:17]
	v_add_f64_e64 v[67:68], v[36:37], -v[18:19]
	v_add_f64_e32 v[89:90], v[36:37], v[18:19]
	v_add_f64_e64 v[46:47], v[75:76], -v[12:13]
	v_add_f64_e64 v[44:45], v[73:74], -v[14:15]
	v_mul_f64_e32 v[97:98], s[20:21], v[77:78]
	v_add_f64_e64 v[87:88], v[28:29], -v[22:23]
	v_mul_f64_e32 v[99:100], s[20:21], v[79:80]
	v_mul_f64_e32 v[101:102], s[14:15], v[77:78]
	v_mul_f64_e32 v[103:104], s[14:15], v[79:80]
	v_mul_f64_e32 v[105:106], s[18:19], v[77:78]
	v_mul_f64_e32 v[107:108], s[18:19], v[79:80]
	v_mul_f64_e32 v[109:110], s[22:23], v[77:78]
	v_mul_f64_e32 v[111:112], s[22:23], v[79:80]
	v_mul_f64_e32 v[77:78], s[24:25], v[77:78]
	v_mul_f64_e32 v[79:80], s[24:25], v[79:80]
	v_mul_f64_e32 v[113:114], s[14:15], v[81:82]
	v_mul_f64_e32 v[115:116], s[14:15], v[83:84]
	s_mov_b32 s15, 0x3fed1bb4
	v_mul_f64_e32 v[117:118], s[22:23], v[81:82]
	v_mul_f64_e32 v[119:120], s[22:23], v[83:84]
	v_add_f64_e32 v[24:25], v[73:74], v[14:15]
	v_add_f64_e32 v[26:27], v[75:76], v[12:13]
	s_wait_alu 0xfffe
	v_mul_f64_e32 v[121:122], s[28:29], v[81:82]
	v_mul_f64_e32 v[123:124], s[28:29], v[83:84]
	v_add_f64_e64 v[85:86], v[30:31], -v[20:21]
	v_add_f64_e32 v[93:94], v[28:29], v[22:23]
	v_add_f64_e32 v[95:96], v[30:31], v[20:21]
	v_add_f64_e32 v[69:70], v[69:70], v[73:74]
	v_add_f64_e32 v[71:72], v[71:72], v[75:76]
	v_mul_f64_e32 v[73:74], s[30:31], v[81:82]
	v_mul_f64_e32 v[75:76], s[30:31], v[83:84]
	v_mul_f64_e32 v[81:82], s[26:27], v[81:82]
	v_mul_f64_e32 v[83:84], s[26:27], v[83:84]
	v_mul_f64_e32 v[141:142], s[22:23], v[65:66]
	v_mul_f64_e32 v[143:144], s[22:23], v[67:68]
	v_mul_f64_e32 v[145:146], s[28:29], v[65:66]
	v_mul_f64_e32 v[125:126], s[18:19], v[46:47]
	v_mul_f64_e32 v[127:128], s[18:19], v[44:45]
	v_mul_f64_e32 v[129:130], s[30:31], v[46:47]
	v_mul_f64_e32 v[159:160], s[24:25], v[87:88]
	v_mul_f64_e32 v[163:164], s[26:27], v[87:88]
	v_mul_f64_e32 v[167:168], s[22:23], v[87:88]
	v_mul_f64_e32 v[171:172], s[18:19], v[87:88]
	v_fma_f64 v[173:174], v[40:41], s[6:7], -v[101:102]
	v_fma_f64 v[175:176], v[42:43], s[6:7], v[103:104]
	v_fma_f64 v[177:178], v[40:41], s[10:11], -v[105:106]
	v_fma_f64 v[179:180], v[42:43], s[10:11], v[107:108]
	v_fma_f64 v[101:102], v[40:41], s[6:7], v[101:102]
	;; [unrolled: 1-line block ×3, first 2 shown]
	v_fma_f64 v[181:182], v[40:41], s[12:13], -v[109:110]
	v_fma_f64 v[183:184], v[42:43], s[12:13], v[111:112]
	v_fma_f64 v[109:110], v[40:41], s[12:13], v[109:110]
	v_fma_f64 v[185:186], v[40:41], s[16:17], -v[77:78]
	v_fma_f64 v[187:188], v[42:43], s[16:17], v[79:80]
	v_fma_f64 v[103:104], v[42:43], s[6:7], -v[103:104]
	v_fma_f64 v[107:108], v[42:43], s[10:11], -v[107:108]
	;; [unrolled: 1-line block ×3, first 2 shown]
	v_mul_f64_e32 v[131:132], s[30:31], v[44:45]
	v_mul_f64_e32 v[133:134], s[20:21], v[46:47]
	;; [unrolled: 1-line block ×7, first 2 shown]
	v_fma_f64 v[189:190], v[32:33], s[12:13], -v[117:118]
	v_add_f64_e32 v[36:37], v[69:70], v[36:37]
	v_add_f64_e32 v[38:39], v[71:72], v[38:39]
	v_mul_f64_e32 v[69:70], s[14:15], v[87:88]
	v_fma_f64 v[71:72], v[40:41], s[2:3], -v[97:98]
	v_fma_f64 v[87:88], v[42:43], s[2:3], v[99:100]
	v_fma_f64 v[97:98], v[40:41], s[2:3], v[97:98]
	v_fma_f64 v[99:100], v[42:43], s[2:3], -v[99:100]
	v_fma_f64 v[40:41], v[40:41], s[16:17], v[77:78]
	v_fma_f64 v[42:43], v[42:43], s[16:17], -v[79:80]
	v_fma_f64 v[77:78], v[32:33], s[6:7], -v[113:114]
	v_fma_f64 v[79:80], v[34:35], s[6:7], v[115:116]
	v_fma_f64 v[113:114], v[32:33], s[6:7], v[113:114]
	v_fma_f64 v[115:116], v[34:35], s[6:7], -v[115:116]
	v_fma_f64 v[191:192], v[34:35], s[12:13], v[119:120]
	v_fma_f64 v[193:194], v[32:33], s[16:17], -v[73:74]
	v_fma_f64 v[195:196], v[34:35], s[16:17], v[75:76]
	v_add_f64_e32 v[173:174], v[0:1], v[173:174]
	v_add_f64_e32 v[175:176], v[2:3], v[175:176]
	;; [unrolled: 1-line block ×4, first 2 shown]
	v_fma_f64 v[117:118], v[32:33], s[12:13], v[117:118]
	v_fma_f64 v[73:74], v[32:33], s[16:17], v[73:74]
	v_fma_f64 v[197:198], v[32:33], s[10:11], -v[121:122]
	v_fma_f64 v[199:200], v[34:35], s[10:11], v[123:124]
	v_add_f64_e32 v[101:102], v[0:1], v[101:102]
	v_add_f64_e32 v[105:106], v[0:1], v[105:106]
	;; [unrolled: 1-line block ×4, first 2 shown]
	v_fma_f64 v[121:122], v[32:33], s[10:11], v[121:122]
	v_add_f64_e32 v[109:110], v[0:1], v[109:110]
	v_add_f64_e32 v[185:186], v[0:1], v[185:186]
	;; [unrolled: 1-line block ×3, first 2 shown]
	v_fma_f64 v[119:120], v[34:35], s[12:13], -v[119:120]
	v_fma_f64 v[75:76], v[34:35], s[16:17], -v[75:76]
	v_add_f64_e32 v[107:108], v[2:3], v[107:108]
	v_add_f64_e32 v[103:104], v[2:3], v[103:104]
	v_mul_f64_e32 v[147:148], s[28:29], v[67:68]
	v_mul_f64_e32 v[149:150], s[20:21], v[65:66]
	v_add_f64_e32 v[28:29], v[36:37], v[28:29]
	v_add_f64_e32 v[30:31], v[38:39], v[30:31]
	v_fma_f64 v[36:37], v[34:35], s[10:11], -v[123:124]
	v_add_f64_e32 v[71:72], v[0:1], v[71:72]
	v_fma_f64 v[38:39], v[32:33], s[2:3], -v[81:82]
	v_add_f64_e32 v[97:98], v[0:1], v[97:98]
	v_add_f64_e32 v[99:100], v[2:3], v[99:100]
	v_fma_f64 v[123:124], v[34:35], s[2:3], v[83:84]
	v_fma_f64 v[32:33], v[32:33], s[2:3], v[81:82]
	v_fma_f64 v[34:35], v[34:35], s[2:3], -v[83:84]
	v_add_f64_e32 v[0:1], v[0:1], v[40:41]
	v_add_f64_e32 v[40:41], v[2:3], v[42:43]
	;; [unrolled: 1-line block ×4, first 2 shown]
	v_mul_f64_e32 v[151:152], s[20:21], v[67:68]
	v_mul_f64_e32 v[153:154], s[24:25], v[65:66]
	v_mul_f64_e32 v[155:156], s[24:25], v[67:68]
	v_mul_f64_e32 v[65:66], s[14:15], v[65:66]
	v_mul_f64_e32 v[67:68], s[14:15], v[67:68]
	v_fma_f64 v[81:82], v[24:25], s[10:11], -v[125:126]
	v_fma_f64 v[83:84], v[26:27], s[10:11], v[127:128]
	v_fma_f64 v[125:126], v[24:25], s[10:11], v[125:126]
	v_fma_f64 v[127:128], v[26:27], s[10:11], -v[127:128]
	v_fma_f64 v[201:202], v[24:25], s[16:17], -v[129:130]
	v_fma_f64 v[203:204], v[26:27], s[16:17], v[131:132]
	v_fma_f64 v[129:130], v[24:25], s[16:17], v[129:130]
	v_fma_f64 v[131:132], v[26:27], s[16:17], -v[131:132]
	;; [unrolled: 4-line block ×3, first 2 shown]
	v_fma_f64 v[87:88], v[24:25], s[12:13], v[137:138]
	v_fma_f64 v[111:112], v[26:27], s[12:13], -v[139:140]
	v_fma_f64 v[213:214], v[24:25], s[6:7], -v[46:47]
	v_add_f64_e32 v[101:102], v[117:118], v[101:102]
	v_add_f64_e32 v[73:74], v[73:74], v[105:106]
	;; [unrolled: 1-line block ×6, first 2 shown]
	v_fma_f64 v[28:29], v[24:25], s[12:13], -v[137:138]
	v_fma_f64 v[30:31], v[26:27], s[12:13], v[139:140]
	v_fma_f64 v[24:25], v[24:25], s[6:7], v[46:47]
	;; [unrolled: 1-line block ×3, first 2 shown]
	v_fma_f64 v[26:27], v[26:27], s[6:7], -v[44:45]
	v_add_f64_e32 v[44:45], v[77:78], v[71:72]
	v_add_f64_e32 v[71:72], v[113:114], v[97:98]
	;; [unrolled: 1-line block ×16, first 2 shown]
	v_mul_f64_e32 v[161:162], s[26:27], v[85:86]
	v_fma_f64 v[137:138], v[89:90], s[12:13], -v[141:142]
	v_fma_f64 v[139:140], v[91:92], s[12:13], v[143:144]
	v_fma_f64 v[141:142], v[89:90], s[12:13], v[141:142]
	v_fma_f64 v[143:144], v[91:92], s[12:13], -v[143:144]
	v_fma_f64 v[209:210], v[89:90], s[10:11], -v[145:146]
	v_fma_f64 v[211:212], v[91:92], s[10:11], v[147:148]
	v_fma_f64 v[145:146], v[89:90], s[10:11], v[145:146]
	v_fma_f64 v[147:148], v[91:92], s[10:11], -v[147:148]
	v_fma_f64 v[42:43], v[89:90], s[2:3], v[149:150]
	v_fma_f64 v[75:76], v[91:92], s[2:3], -v[151:152]
	v_fma_f64 v[79:80], v[89:90], s[16:17], -v[153:154]
	v_fma_f64 v[103:104], v[91:92], s[16:17], v[155:156]
	v_fma_f64 v[107:108], v[89:90], s[16:17], v[153:154]
	v_fma_f64 v[119:120], v[91:92], s[16:17], -v[155:156]
	v_add_f64_e32 v[18:19], v[22:23], v[18:19]
	v_add_f64_e32 v[16:17], v[20:21], v[16:17]
	v_fma_f64 v[20:21], v[89:90], s[2:3], -v[149:150]
	v_fma_f64 v[22:23], v[91:92], s[2:3], v[151:152]
	v_fma_f64 v[155:156], v[89:90], s[6:7], -v[65:66]
	v_fma_f64 v[65:66], v[89:90], s[6:7], v[65:66]
	v_fma_f64 v[89:90], v[91:92], s[6:7], v[67:68]
	v_fma_f64 v[67:68], v[91:92], s[6:7], -v[67:68]
	v_add_f64_e32 v[44:45], v[81:82], v[44:45]
	v_mul_f64_e32 v[165:166], s[22:23], v[85:86]
	v_add_f64_e32 v[81:82], v[201:202], v[97:98]
	v_add_f64_e32 v[91:92], v[203:204], v[99:100]
	;; [unrolled: 1-line block ×4, first 2 shown]
	v_mul_f64_e32 v[157:158], s[24:25], v[85:86]
	v_mul_f64_e32 v[169:170], s[18:19], v[85:86]
	;; [unrolled: 1-line block ×3, first 2 shown]
	v_add_f64_e32 v[97:98], v[129:130], v[101:102]
	v_add_f64_e32 v[24:25], v[24:25], v[73:74]
	v_add_f64_e32 v[73:74], v[205:206], v[105:106]
	v_add_f64_e32 v[101:102], v[207:208], v[117:118]
	v_add_f64_e32 v[28:29], v[28:29], v[38:39]
	v_add_f64_e32 v[30:31], v[30:31], v[121:122]
	v_add_f64_e32 v[0:1], v[87:88], v[0:1]
	v_add_f64_e32 v[32:33], v[111:112], v[32:33]
	v_add_f64_e32 v[105:106], v[133:134], v[109:110]
	v_add_f64_e32 v[34:35], v[135:136], v[34:35]
	v_add_f64_e32 v[26:27], v[26:27], v[36:37]
	v_add_f64_e32 v[36:37], v[131:132], v[40:41]
	v_add_f64_e32 v[71:72], v[125:126], v[71:72]
	v_add_f64_e32 v[77:78], v[127:128], v[77:78]
	v_add_f64_e32 v[2:3], v[83:84], v[2:3]
	v_fma_f64 v[87:88], v[95:96], s[12:13], v[167:168]
	v_fma_f64 v[127:128], v[95:96], s[6:7], v[69:70]
	;; [unrolled: 1-line block ×4, first 2 shown]
	v_fma_f64 v[121:122], v[95:96], s[10:11], -v[171:172]
	v_fma_f64 v[69:70], v[95:96], s[6:7], -v[69:70]
	v_add_f64_e32 v[14:15], v[18:19], v[14:15]
	v_add_f64_e32 v[12:13], v[16:17], v[12:13]
	v_fma_f64 v[16:17], v[93:94], s[2:3], -v[161:162]
	v_fma_f64 v[18:19], v[95:96], s[2:3], v[163:164]
	v_fma_f64 v[111:112], v[95:96], s[12:13], -v[167:168]
	v_fma_f64 v[83:84], v[95:96], s[2:3], -v[163:164]
	;; [unrolled: 1-line block ×3, first 2 shown]
	v_fma_f64 v[149:150], v[95:96], s[16:17], v[159:160]
	v_add_f64_e32 v[44:45], v[137:138], v[44:45]
	v_fma_f64 v[40:41], v[93:94], s[12:13], -v[165:166]
	v_add_f64_e32 v[81:82], v[209:210], v[81:82]
	v_add_f64_e32 v[91:92], v[211:212], v[91:92]
	;; [unrolled: 1-line block ×4, first 2 shown]
	v_fma_f64 v[123:124], v[93:94], s[16:17], -v[157:158]
	v_fma_f64 v[151:152], v[93:94], s[16:17], v[157:158]
	v_fma_f64 v[125:126], v[93:94], s[6:7], -v[85:86]
	v_fma_f64 v[109:110], v[93:94], s[12:13], v[165:166]
	v_add_f64_e32 v[24:25], v[42:43], v[24:25]
	v_add_f64_e32 v[42:43], v[79:80], v[73:74]
	;; [unrolled: 1-line block ×3, first 2 shown]
	v_fma_f64 v[113:114], v[93:94], s[10:11], -v[169:170]
	v_fma_f64 v[117:118], v[93:94], s[10:11], v[169:170]
	v_fma_f64 v[85:86], v[93:94], s[6:7], v[85:86]
	v_add_f64_e32 v[93:94], v[145:146], v[97:98]
	v_add_f64_e32 v[79:80], v[155:156], v[28:29]
	;; [unrolled: 1-line block ×12, first 2 shown]
	s_mov_b32 s2, exec_lo
	v_add_f64_e32 v[95:96], v[14:15], v[10:11]
	v_add_f64_e32 v[97:98], v[12:13], v[8:9]
	;; [unrolled: 1-line block ×24, first 2 shown]
	ds_store_b128 v49, v[12:15] offset:704
	ds_store_b128 v49, v[20:23] offset:1056
	;; [unrolled: 1-line block ×9, first 2 shown]
	ds_store_b128 v49, v[44:47]
	ds_store_b128 v49, v[0:3] offset:352
	global_wb scope:SCOPE_SE
	s_wait_dscnt 0x0
	s_barrier_signal -1
	s_barrier_wait -1
	global_inv scope:SCOPE_SE
	ds_load_b128 v[4:7], v59
	v_sub_nc_u32_e32 v10, v60, v54
                                        ; implicit-def: $vgpr2_vgpr3
                                        ; implicit-def: $vgpr8_vgpr9
	v_cmpx_ne_u32_e32 0, v48
	s_wait_alu 0xfffe
	s_xor_b32 s2, exec_lo, s2
	s_cbranch_execz .LBB0_18
; %bb.17:
	v_mov_b32_e32 v49, 0
	s_delay_alu instid0(VALU_DEP_1) | instskip(NEXT) | instid1(VALU_DEP_1)
	v_lshlrev_b64_e32 v[0:1], 4, v[48:49]
	v_add_co_u32 v0, s1, s4, v0
	s_wait_alu 0xf1ff
	s_delay_alu instid0(VALU_DEP_2)
	v_add_co_ci_u32_e64 v1, s1, s5, v1, s1
	global_load_b128 v[11:14], v[0:1], off offset:3696
	ds_load_b128 v[0:3], v10 offset:3872
	s_wait_dscnt 0x0
	v_add_f64_e64 v[8:9], v[4:5], -v[0:1]
	v_add_f64_e32 v[15:16], v[6:7], v[2:3]
	v_add_f64_e64 v[2:3], v[6:7], -v[2:3]
	v_add_f64_e32 v[0:1], v[4:5], v[0:1]
	s_delay_alu instid0(VALU_DEP_4) | instskip(NEXT) | instid1(VALU_DEP_4)
	v_mul_f64_e32 v[6:7], 0.5, v[8:9]
	v_mul_f64_e32 v[4:5], 0.5, v[15:16]
	s_delay_alu instid0(VALU_DEP_4) | instskip(SKIP_1) | instid1(VALU_DEP_3)
	v_mul_f64_e32 v[2:3], 0.5, v[2:3]
	s_wait_loadcnt 0x0
	v_mul_f64_e32 v[8:9], v[6:7], v[13:14]
	s_delay_alu instid0(VALU_DEP_2) | instskip(SKIP_1) | instid1(VALU_DEP_3)
	v_fma_f64 v[15:16], v[4:5], v[13:14], v[2:3]
	v_fma_f64 v[2:3], v[4:5], v[13:14], -v[2:3]
	v_fma_f64 v[17:18], v[0:1], 0.5, v[8:9]
	v_fma_f64 v[0:1], v[0:1], 0.5, -v[8:9]
	s_delay_alu instid0(VALU_DEP_4) | instskip(NEXT) | instid1(VALU_DEP_4)
	v_fma_f64 v[8:9], -v[11:12], v[6:7], v[15:16]
	v_fma_f64 v[2:3], -v[11:12], v[6:7], v[2:3]
	s_delay_alu instid0(VALU_DEP_4) | instskip(NEXT) | instid1(VALU_DEP_4)
	v_fma_f64 v[13:14], v[4:5], v[11:12], v[17:18]
	v_fma_f64 v[0:1], -v[4:5], v[11:12], v[0:1]
                                        ; implicit-def: $vgpr4_vgpr5
	ds_store_b64 v59, v[13:14]
.LBB0_18:
	s_wait_alu 0xfffe
	s_and_not1_saveexec_b32 s1, s2
	s_cbranch_execz .LBB0_20
; %bb.19:
	s_wait_dscnt 0x0
	v_add_f64_e32 v[11:12], v[4:5], v[6:7]
	v_add_f64_e64 v[0:1], v[4:5], -v[6:7]
	ds_load_b64 v[4:5], v60 offset:1944
	v_mov_b32_e32 v8, 0
	v_mov_b32_e32 v9, 0
	s_delay_alu instid0(VALU_DEP_1)
	v_dual_mov_b32 v2, v8 :: v_dual_mov_b32 v3, v9
	s_wait_dscnt 0x0
	v_xor_b32_e32 v5, 0x80000000, v5
	ds_store_b64 v59, v[11:12]
	ds_store_b64 v60, v[4:5] offset:1944
.LBB0_20:
	s_wait_alu 0xfffe
	s_or_b32 exec_lo, exec_lo, s1
	v_mov_b32_e32 v54, 0
	s_wait_dscnt 0x0
	s_delay_alu instid0(VALU_DEP_1) | instskip(SKIP_1) | instid1(VALU_DEP_1)
	v_lshlrev_b64_e32 v[4:5], 4, v[53:54]
	v_mov_b32_e32 v58, v54
	v_lshlrev_b64_e32 v[11:12], 4, v[57:58]
	v_mov_b32_e32 v57, v54
	s_delay_alu instid0(VALU_DEP_4) | instskip(SKIP_2) | instid1(VALU_DEP_4)
	v_add_co_u32 v4, s1, s4, v4
	s_wait_alu 0xf1ff
	v_add_co_ci_u32_e64 v5, s1, s5, v5, s1
	v_add_co_u32 v11, s1, s4, v11
	s_wait_alu 0xf1ff
	v_add_co_ci_u32_e64 v12, s1, s5, v12, s1
	s_clause 0x1
	global_load_b128 v[4:7], v[4:5], off offset:3696
	global_load_b128 v[11:14], v[11:12], off offset:3696
	ds_store_b64 v59, v[8:9] offset:8
	ds_store_b128 v10, v[0:3] offset:3872
	ds_load_b128 v[0:3], v64
	ds_load_b128 v[15:18], v10 offset:3520
	s_wait_dscnt 0x0
	v_add_f64_e64 v[8:9], v[0:1], -v[15:16]
	v_add_f64_e32 v[19:20], v[2:3], v[17:18]
	v_add_f64_e64 v[2:3], v[2:3], -v[17:18]
	v_add_f64_e32 v[0:1], v[0:1], v[15:16]
	s_delay_alu instid0(VALU_DEP_4) | instskip(NEXT) | instid1(VALU_DEP_4)
	v_mul_f64_e32 v[8:9], 0.5, v[8:9]
	v_mul_f64_e32 v[17:18], 0.5, v[19:20]
	s_delay_alu instid0(VALU_DEP_4) | instskip(SKIP_1) | instid1(VALU_DEP_3)
	v_mul_f64_e32 v[2:3], 0.5, v[2:3]
	s_wait_loadcnt 0x1
	v_mul_f64_e32 v[15:16], v[8:9], v[6:7]
	s_delay_alu instid0(VALU_DEP_2) | instskip(SKIP_1) | instid1(VALU_DEP_3)
	v_fma_f64 v[19:20], v[17:18], v[6:7], v[2:3]
	v_fma_f64 v[6:7], v[17:18], v[6:7], -v[2:3]
	v_fma_f64 v[21:22], v[0:1], 0.5, v[15:16]
	v_fma_f64 v[15:16], v[0:1], 0.5, -v[15:16]
	s_delay_alu instid0(VALU_DEP_4) | instskip(NEXT) | instid1(VALU_DEP_4)
	v_fma_f64 v[2:3], -v[4:5], v[8:9], v[19:20]
	v_fma_f64 v[6:7], -v[4:5], v[8:9], v[6:7]
	v_lshlrev_b64_e32 v[8:9], 4, v[56:57]
	v_mov_b32_e32 v56, v54
	s_delay_alu instid0(VALU_DEP_2) | instskip(SKIP_1) | instid1(VALU_DEP_3)
	v_add_co_u32 v8, s1, s4, v8
	s_wait_alu 0xf1ff
	v_add_co_ci_u32_e64 v9, s1, s5, v9, s1
	v_fma_f64 v[0:1], v[17:18], v[4:5], v[21:22]
	v_fma_f64 v[4:5], -v[17:18], v[4:5], v[15:16]
	global_load_b128 v[15:18], v[8:9], off offset:3696
	ds_store_b128 v64, v[0:3]
	ds_store_b128 v10, v[4:7] offset:3520
	ds_load_b128 v[0:3], v63
	ds_load_b128 v[4:7], v10 offset:3168
	s_wait_dscnt 0x0
	v_add_f64_e64 v[8:9], v[0:1], -v[4:5]
	v_add_f64_e32 v[19:20], v[2:3], v[6:7]
	v_add_f64_e64 v[2:3], v[2:3], -v[6:7]
	v_add_f64_e32 v[0:1], v[0:1], v[4:5]
	s_delay_alu instid0(VALU_DEP_4) | instskip(NEXT) | instid1(VALU_DEP_4)
	v_mul_f64_e32 v[6:7], 0.5, v[8:9]
	v_mul_f64_e32 v[8:9], 0.5, v[19:20]
	s_delay_alu instid0(VALU_DEP_4) | instskip(SKIP_1) | instid1(VALU_DEP_3)
	v_mul_f64_e32 v[2:3], 0.5, v[2:3]
	s_wait_loadcnt 0x1
	v_mul_f64_e32 v[4:5], v[6:7], v[13:14]
	s_delay_alu instid0(VALU_DEP_2) | instskip(SKIP_1) | instid1(VALU_DEP_3)
	v_fma_f64 v[19:20], v[8:9], v[13:14], v[2:3]
	v_fma_f64 v[13:14], v[8:9], v[13:14], -v[2:3]
	v_fma_f64 v[21:22], v[0:1], 0.5, v[4:5]
	v_fma_f64 v[4:5], v[0:1], 0.5, -v[4:5]
	s_delay_alu instid0(VALU_DEP_4) | instskip(NEXT) | instid1(VALU_DEP_4)
	v_fma_f64 v[2:3], -v[11:12], v[6:7], v[19:20]
	v_fma_f64 v[6:7], -v[11:12], v[6:7], v[13:14]
	s_delay_alu instid0(VALU_DEP_4) | instskip(NEXT) | instid1(VALU_DEP_4)
	v_fma_f64 v[0:1], v[8:9], v[11:12], v[21:22]
	v_fma_f64 v[4:5], -v[8:9], v[11:12], v[4:5]
	v_lshlrev_b64_e32 v[8:9], 4, v[55:56]
	s_delay_alu instid0(VALU_DEP_1) | instskip(SKIP_1) | instid1(VALU_DEP_2)
	v_add_co_u32 v8, s1, s4, v8
	s_wait_alu 0xf1ff
	v_add_co_ci_u32_e64 v9, s1, s5, v9, s1
	global_load_b128 v[11:14], v[8:9], off offset:3696
	ds_store_b128 v63, v[0:3]
	ds_store_b128 v10, v[4:7] offset:3168
	ds_load_b128 v[0:3], v62
	ds_load_b128 v[4:7], v10 offset:2816
	s_wait_dscnt 0x0
	v_add_f64_e64 v[8:9], v[0:1], -v[4:5]
	v_add_f64_e32 v[19:20], v[2:3], v[6:7]
	v_add_f64_e64 v[2:3], v[2:3], -v[6:7]
	v_add_f64_e32 v[0:1], v[0:1], v[4:5]
	s_delay_alu instid0(VALU_DEP_4) | instskip(NEXT) | instid1(VALU_DEP_4)
	v_mul_f64_e32 v[6:7], 0.5, v[8:9]
	v_mul_f64_e32 v[8:9], 0.5, v[19:20]
	s_delay_alu instid0(VALU_DEP_4) | instskip(SKIP_1) | instid1(VALU_DEP_3)
	v_mul_f64_e32 v[2:3], 0.5, v[2:3]
	s_wait_loadcnt 0x1
	v_mul_f64_e32 v[4:5], v[6:7], v[17:18]
	s_delay_alu instid0(VALU_DEP_2) | instskip(SKIP_1) | instid1(VALU_DEP_3)
	v_fma_f64 v[19:20], v[8:9], v[17:18], v[2:3]
	v_fma_f64 v[17:18], v[8:9], v[17:18], -v[2:3]
	v_fma_f64 v[21:22], v[0:1], 0.5, v[4:5]
	v_fma_f64 v[4:5], v[0:1], 0.5, -v[4:5]
	s_delay_alu instid0(VALU_DEP_4) | instskip(NEXT) | instid1(VALU_DEP_4)
	v_fma_f64 v[2:3], -v[15:16], v[6:7], v[19:20]
	v_fma_f64 v[6:7], -v[15:16], v[6:7], v[17:18]
	s_delay_alu instid0(VALU_DEP_4) | instskip(NEXT) | instid1(VALU_DEP_4)
	v_fma_f64 v[0:1], v[8:9], v[15:16], v[21:22]
	v_fma_f64 v[4:5], -v[8:9], v[15:16], v[4:5]
	ds_store_b128 v62, v[0:3]
	ds_store_b128 v10, v[4:7] offset:2816
	ds_load_b128 v[0:3], v61
	ds_load_b128 v[4:7], v10 offset:2464
	s_wait_dscnt 0x0
	v_add_f64_e64 v[8:9], v[0:1], -v[4:5]
	v_add_f64_e32 v[15:16], v[2:3], v[6:7]
	v_add_f64_e64 v[2:3], v[2:3], -v[6:7]
	v_add_f64_e32 v[0:1], v[0:1], v[4:5]
	s_delay_alu instid0(VALU_DEP_4) | instskip(NEXT) | instid1(VALU_DEP_4)
	v_mul_f64_e32 v[6:7], 0.5, v[8:9]
	v_mul_f64_e32 v[8:9], 0.5, v[15:16]
	s_delay_alu instid0(VALU_DEP_4) | instskip(SKIP_1) | instid1(VALU_DEP_3)
	v_mul_f64_e32 v[2:3], 0.5, v[2:3]
	s_wait_loadcnt 0x0
	v_mul_f64_e32 v[4:5], v[6:7], v[13:14]
	s_delay_alu instid0(VALU_DEP_2) | instskip(SKIP_1) | instid1(VALU_DEP_3)
	v_fma_f64 v[15:16], v[8:9], v[13:14], v[2:3]
	v_fma_f64 v[13:14], v[8:9], v[13:14], -v[2:3]
	v_fma_f64 v[17:18], v[0:1], 0.5, v[4:5]
	v_fma_f64 v[4:5], v[0:1], 0.5, -v[4:5]
	s_delay_alu instid0(VALU_DEP_4) | instskip(NEXT) | instid1(VALU_DEP_4)
	v_fma_f64 v[2:3], -v[11:12], v[6:7], v[15:16]
	v_fma_f64 v[6:7], -v[11:12], v[6:7], v[13:14]
	s_delay_alu instid0(VALU_DEP_4) | instskip(NEXT) | instid1(VALU_DEP_4)
	v_fma_f64 v[0:1], v[8:9], v[11:12], v[17:18]
	v_fma_f64 v[4:5], -v[8:9], v[11:12], v[4:5]
	ds_store_b128 v61, v[0:3]
	ds_store_b128 v10, v[4:7] offset:2464
	s_and_saveexec_b32 s1, s0
	s_cbranch_execz .LBB0_22
; %bb.21:
	v_mov_b32_e32 v53, v54
	v_lshl_add_u32 v17, v52, 4, v60
	s_delay_alu instid0(VALU_DEP_2) | instskip(NEXT) | instid1(VALU_DEP_1)
	v_lshlrev_b64_e32 v[0:1], 4, v[52:53]
	v_add_co_u32 v0, s0, s4, v0
	s_wait_alu 0xf1ff
	s_delay_alu instid0(VALU_DEP_2)
	v_add_co_ci_u32_e64 v1, s0, s5, v1, s0
	global_load_b128 v[0:3], v[0:1], off offset:3696
	ds_load_b128 v[4:7], v17
	ds_load_b128 v[11:14], v10 offset:2112
	s_wait_dscnt 0x0
	v_add_f64_e64 v[8:9], v[4:5], -v[11:12]
	v_add_f64_e32 v[15:16], v[6:7], v[13:14]
	v_add_f64_e64 v[6:7], v[6:7], -v[13:14]
	v_add_f64_e32 v[4:5], v[4:5], v[11:12]
	s_delay_alu instid0(VALU_DEP_4) | instskip(NEXT) | instid1(VALU_DEP_4)
	v_mul_f64_e32 v[8:9], 0.5, v[8:9]
	v_mul_f64_e32 v[13:14], 0.5, v[15:16]
	s_delay_alu instid0(VALU_DEP_4) | instskip(SKIP_1) | instid1(VALU_DEP_3)
	v_mul_f64_e32 v[6:7], 0.5, v[6:7]
	s_wait_loadcnt 0x0
	v_mul_f64_e32 v[11:12], v[8:9], v[2:3]
	s_delay_alu instid0(VALU_DEP_2) | instskip(SKIP_1) | instid1(VALU_DEP_3)
	v_fma_f64 v[15:16], v[13:14], v[2:3], v[6:7]
	v_fma_f64 v[2:3], v[13:14], v[2:3], -v[6:7]
	v_fma_f64 v[6:7], v[4:5], 0.5, v[11:12]
	v_fma_f64 v[11:12], v[4:5], 0.5, -v[11:12]
	s_delay_alu instid0(VALU_DEP_4) | instskip(NEXT) | instid1(VALU_DEP_4)
	v_fma_f64 v[4:5], -v[0:1], v[8:9], v[15:16]
	v_fma_f64 v[8:9], -v[0:1], v[8:9], v[2:3]
	s_delay_alu instid0(VALU_DEP_4) | instskip(NEXT) | instid1(VALU_DEP_4)
	v_fma_f64 v[2:3], v[13:14], v[0:1], v[6:7]
	v_fma_f64 v[6:7], -v[13:14], v[0:1], v[11:12]
	ds_store_b128 v17, v[2:5]
	ds_store_b128 v10, v[6:9] offset:2112
.LBB0_22:
	s_wait_alu 0xfffe
	s_or_b32 exec_lo, exec_lo, s1
	global_wb scope:SCOPE_SE
	s_wait_dscnt 0x0
	s_barrier_signal -1
	s_barrier_wait -1
	global_inv scope:SCOPE_SE
	s_and_saveexec_b32 s0, vcc_lo
	s_cbranch_execz .LBB0_25
; %bb.23:
	ds_load_b128 v[2:5], v59
	ds_load_b128 v[6:9], v59 offset:352
	ds_load_b128 v[10:13], v59 offset:704
	ds_load_b128 v[14:17], v59 offset:1056
	ds_load_b128 v[18:21], v59 offset:1408
	ds_load_b128 v[22:25], v59 offset:1760
	ds_load_b128 v[26:29], v59 offset:2112
	ds_load_b128 v[30:33], v59 offset:2464
	ds_load_b128 v[34:37], v59 offset:2816
	ds_load_b128 v[38:41], v59 offset:3168
	ds_load_b128 v[42:45], v59 offset:3520
	v_mov_b32_e32 v49, 0
	v_add_co_u32 v0, vcc_lo, s8, v50
	s_wait_alu 0xfffd
	v_add_co_ci_u32_e32 v1, vcc_lo, s9, v51, vcc_lo
	s_delay_alu instid0(VALU_DEP_3) | instskip(NEXT) | instid1(VALU_DEP_1)
	v_lshlrev_b64_e32 v[46:47], 4, v[48:49]
	v_add_co_u32 v46, vcc_lo, v0, v46
	s_wait_alu 0xfffd
	s_delay_alu instid0(VALU_DEP_2)
	v_add_co_ci_u32_e32 v47, vcc_lo, v1, v47, vcc_lo
	v_cmp_eq_u32_e32 vcc_lo, 21, v48
	s_wait_dscnt 0xa
	global_store_b128 v[46:47], v[2:5], off
	s_wait_dscnt 0x9
	global_store_b128 v[46:47], v[6:9], off offset:352
	s_wait_dscnt 0x8
	global_store_b128 v[46:47], v[10:13], off offset:704
	;; [unrolled: 2-line block ×10, first 2 shown]
	s_and_b32 exec_lo, exec_lo, vcc_lo
	s_cbranch_execz .LBB0_25
; %bb.24:
	ds_load_b128 v[2:5], v59 offset:3536
	s_wait_dscnt 0x0
	global_store_b128 v[0:1], v[2:5], off offset:3872
.LBB0_25:
	s_nop 0
	s_sendmsg sendmsg(MSG_DEALLOC_VGPRS)
	s_endpgm
	.section	.rodata,"a",@progbits
	.p2align	6, 0x0
	.amdhsa_kernel fft_rtc_fwd_len242_factors_11_2_11_wgs_110_tpt_22_dp_ip_CI_unitstride_sbrr_R2C_dirReg
		.amdhsa_group_segment_fixed_size 0
		.amdhsa_private_segment_fixed_size 0
		.amdhsa_kernarg_size 88
		.amdhsa_user_sgpr_count 2
		.amdhsa_user_sgpr_dispatch_ptr 0
		.amdhsa_user_sgpr_queue_ptr 0
		.amdhsa_user_sgpr_kernarg_segment_ptr 1
		.amdhsa_user_sgpr_dispatch_id 0
		.amdhsa_user_sgpr_private_segment_size 0
		.amdhsa_wavefront_size32 1
		.amdhsa_uses_dynamic_stack 0
		.amdhsa_enable_private_segment 0
		.amdhsa_system_sgpr_workgroup_id_x 1
		.amdhsa_system_sgpr_workgroup_id_y 0
		.amdhsa_system_sgpr_workgroup_id_z 0
		.amdhsa_system_sgpr_workgroup_info 0
		.amdhsa_system_vgpr_workitem_id 0
		.amdhsa_next_free_vgpr 215
		.amdhsa_next_free_sgpr 32
		.amdhsa_reserve_vcc 1
		.amdhsa_float_round_mode_32 0
		.amdhsa_float_round_mode_16_64 0
		.amdhsa_float_denorm_mode_32 3
		.amdhsa_float_denorm_mode_16_64 3
		.amdhsa_fp16_overflow 0
		.amdhsa_workgroup_processor_mode 1
		.amdhsa_memory_ordered 1
		.amdhsa_forward_progress 0
		.amdhsa_round_robin_scheduling 0
		.amdhsa_exception_fp_ieee_invalid_op 0
		.amdhsa_exception_fp_denorm_src 0
		.amdhsa_exception_fp_ieee_div_zero 0
		.amdhsa_exception_fp_ieee_overflow 0
		.amdhsa_exception_fp_ieee_underflow 0
		.amdhsa_exception_fp_ieee_inexact 0
		.amdhsa_exception_int_div_zero 0
	.end_amdhsa_kernel
	.text
.Lfunc_end0:
	.size	fft_rtc_fwd_len242_factors_11_2_11_wgs_110_tpt_22_dp_ip_CI_unitstride_sbrr_R2C_dirReg, .Lfunc_end0-fft_rtc_fwd_len242_factors_11_2_11_wgs_110_tpt_22_dp_ip_CI_unitstride_sbrr_R2C_dirReg
                                        ; -- End function
	.section	.AMDGPU.csdata,"",@progbits
; Kernel info:
; codeLenInByte = 9700
; NumSgprs: 34
; NumVgprs: 215
; ScratchSize: 0
; MemoryBound: 0
; FloatMode: 240
; IeeeMode: 1
; LDSByteSize: 0 bytes/workgroup (compile time only)
; SGPRBlocks: 4
; VGPRBlocks: 26
; NumSGPRsForWavesPerEU: 34
; NumVGPRsForWavesPerEU: 215
; Occupancy: 7
; WaveLimiterHint : 1
; COMPUTE_PGM_RSRC2:SCRATCH_EN: 0
; COMPUTE_PGM_RSRC2:USER_SGPR: 2
; COMPUTE_PGM_RSRC2:TRAP_HANDLER: 0
; COMPUTE_PGM_RSRC2:TGID_X_EN: 1
; COMPUTE_PGM_RSRC2:TGID_Y_EN: 0
; COMPUTE_PGM_RSRC2:TGID_Z_EN: 0
; COMPUTE_PGM_RSRC2:TIDIG_COMP_CNT: 0
	.text
	.p2alignl 7, 3214868480
	.fill 96, 4, 3214868480
	.type	__hip_cuid_a0c20c2d4177f4d8,@object ; @__hip_cuid_a0c20c2d4177f4d8
	.section	.bss,"aw",@nobits
	.globl	__hip_cuid_a0c20c2d4177f4d8
__hip_cuid_a0c20c2d4177f4d8:
	.byte	0                               ; 0x0
	.size	__hip_cuid_a0c20c2d4177f4d8, 1

	.ident	"AMD clang version 19.0.0git (https://github.com/RadeonOpenCompute/llvm-project roc-6.4.0 25133 c7fe45cf4b819c5991fe208aaa96edf142730f1d)"
	.section	".note.GNU-stack","",@progbits
	.addrsig
	.addrsig_sym __hip_cuid_a0c20c2d4177f4d8
	.amdgpu_metadata
---
amdhsa.kernels:
  - .args:
      - .actual_access:  read_only
        .address_space:  global
        .offset:         0
        .size:           8
        .value_kind:     global_buffer
      - .offset:         8
        .size:           8
        .value_kind:     by_value
      - .actual_access:  read_only
        .address_space:  global
        .offset:         16
        .size:           8
        .value_kind:     global_buffer
      - .actual_access:  read_only
        .address_space:  global
        .offset:         24
        .size:           8
        .value_kind:     global_buffer
      - .offset:         32
        .size:           8
        .value_kind:     by_value
      - .actual_access:  read_only
        .address_space:  global
        .offset:         40
        .size:           8
        .value_kind:     global_buffer
      - .actual_access:  read_only
        .address_space:  global
        .offset:         48
        .size:           8
        .value_kind:     global_buffer
      - .offset:         56
        .size:           4
        .value_kind:     by_value
      - .actual_access:  read_only
        .address_space:  global
        .offset:         64
        .size:           8
        .value_kind:     global_buffer
      - .actual_access:  read_only
        .address_space:  global
        .offset:         72
        .size:           8
        .value_kind:     global_buffer
      - .address_space:  global
        .offset:         80
        .size:           8
        .value_kind:     global_buffer
    .group_segment_fixed_size: 0
    .kernarg_segment_align: 8
    .kernarg_segment_size: 88
    .language:       OpenCL C
    .language_version:
      - 2
      - 0
    .max_flat_workgroup_size: 110
    .name:           fft_rtc_fwd_len242_factors_11_2_11_wgs_110_tpt_22_dp_ip_CI_unitstride_sbrr_R2C_dirReg
    .private_segment_fixed_size: 0
    .sgpr_count:     34
    .sgpr_spill_count: 0
    .symbol:         fft_rtc_fwd_len242_factors_11_2_11_wgs_110_tpt_22_dp_ip_CI_unitstride_sbrr_R2C_dirReg.kd
    .uniform_work_group_size: 1
    .uses_dynamic_stack: false
    .vgpr_count:     215
    .vgpr_spill_count: 0
    .wavefront_size: 32
    .workgroup_processor_mode: 1
amdhsa.target:   amdgcn-amd-amdhsa--gfx1201
amdhsa.version:
  - 1
  - 2
...

	.end_amdgpu_metadata
